;; amdgpu-corpus repo=zjin-lcf/HeCBench kind=compiled arch=gfx906 opt=O3
	.amdgcn_target "amdgcn-amd-amdhsa--gfx906"
	.amdhsa_code_object_version 6
	.text
	.protected	_Z13TaskQueue_gpuPK6task_tPiS2_iii ; -- Begin function _Z13TaskQueue_gpuPK6task_tPiS2_iii
	.globl	_Z13TaskQueue_gpuPK6task_tPiS2_iii
	.p2align	8
	.type	_Z13TaskQueue_gpuPK6task_tPiS2_iii,@function
_Z13TaskQueue_gpuPK6task_tPiS2_iii:     ; @_Z13TaskQueue_gpuPK6task_tPiS2_iii
; %bb.0:
	s_load_dwordx4 s[8:11], s[4:5], 0x0
	s_load_dwordx2 s[6:7], s[4:5], 0x10
	s_load_dword s16, s[4:5], 0x34
	v_cmp_eq_u32_e64 s[0:1], 0, v0
	s_and_saveexec_b64 s[2:3], s[0:1]
	s_cbranch_execz .LBB0_4
; %bb.1:
	s_mov_b64 s[14:15], exec
	v_mbcnt_lo_u32_b32 v1, s14, 0
	v_mbcnt_hi_u32_b32 v1, s15, v1
	v_cmp_eq_u32_e32 vcc, 0, v1
                                        ; implicit-def: $vgpr2
	s_and_saveexec_b64 s[12:13], vcc
	s_cbranch_execz .LBB0_3
; %bb.2:
	s_bcnt1_i32_b64 s14, s[14:15]
	v_mov_b32_e32 v2, 0
	v_mov_b32_e32 v3, s14
	s_waitcnt lgkmcnt(0)
	global_atomic_add v2, v2, v3, s[6:7] glc
.LBB0_3:
	s_or_b64 exec, exec, s[12:13]
	s_waitcnt vmcnt(0)
	v_readfirstlane_b32 s12, v2
	v_add_u32_e32 v1, s12, v1
	v_ashrrev_i32_e32 v2, 31, v1
	v_lshlrev_b64 v[2:3], 3, v[1:2]
	s_waitcnt lgkmcnt(0)
	v_mov_b32_e32 v4, s9
	v_add_co_u32_e32 v2, vcc, s8, v2
	v_addc_co_u32_e32 v3, vcc, v4, v3, vcc
	global_load_dwordx2 v[2:3], v[2:3], off
	v_mov_b32_e32 v4, 0
	s_waitcnt vmcnt(0)
	ds_write2_b32 v4, v1, v2 offset1:1
	ds_write_b32 v4, v3 offset:8
.LBB0_4:
	s_or_b64 exec, exec, s[2:3]
	v_mov_b32_e32 v3, 0
	s_load_dwordx4 s[12:15], s[4:5], 0x18
	s_waitcnt lgkmcnt(0)
	s_barrier
	ds_read_b32 v1, v3
	s_waitcnt lgkmcnt(0)
	v_cmp_le_i32_e32 vcc, s14, v1
	s_cbranch_vccnz .LBB0_22
; %bb.5:
	s_and_b32 s15, 0xffff, s16
	s_cmp_lt_i32 s12, 1
	s_cselect_b64 s[2:3], -1, 0
	v_cndmask_b32_e64 v1, 0, 1, s[2:3]
	s_mul_i32 s12, s12, s15
	v_cmp_ne_u32_e64 s[2:3], 1, v1
	s_branch .LBB0_8
.LBB0_6:                                ;   in Loop: Header=BB0_8 Depth=1
	s_or_b64 exec, exec, s[16:17]
	s_waitcnt vmcnt(0)
	v_readfirstlane_b32 s16, v2
	v_add_u32_e32 v1, s16, v1
	v_ashrrev_i32_e32 v2, 31, v1
	v_lshlrev_b64 v[4:5], 3, v[1:2]
	v_mov_b32_e32 v2, s9
	v_add_co_u32_e32 v4, vcc, s8, v4
	v_addc_co_u32_e32 v5, vcc, v2, v5, vcc
	global_load_dwordx2 v[4:5], v[4:5], off
	s_waitcnt vmcnt(0)
	ds_write2_b32 v3, v1, v4 offset1:1
	ds_write_b32 v3, v5 offset:8
.LBB0_7:                                ;   in Loop: Header=BB0_8 Depth=1
	s_or_b64 exec, exec, s[4:5]
	s_waitcnt lgkmcnt(0)
	s_barrier
	ds_read_b32 v1, v3
	s_waitcnt lgkmcnt(0)
	v_cmp_gt_i32_e32 vcc, s14, v1
	s_cbranch_vccz .LBB0_22
.LBB0_8:                                ; =>This Inner Loop Header: Depth=1
	ds_read_b32 v1, v3 offset:8
	s_mov_b64 s[4:5], -1
	s_waitcnt lgkmcnt(0)
	v_cmp_gt_i32_e32 vcc, 2, v1
	v_readfirstlane_b32 s16, v1
	s_cbranch_vccnz .LBB0_12
; %bb.9:                                ;   in Loop: Header=BB0_8 Depth=1
	s_cmp_eq_u32 s16, 2
	s_cbranch_scc0 .LBB0_11
; %bb.10:                               ;   in Loop: Header=BB0_8 Depth=1
	ds_read_b32 v4, v3 offset:4
	v_mov_b32_e32 v5, s11
	s_waitcnt lgkmcnt(0)
	v_subrev_u32_e32 v1, s13, v4
	v_mul_lo_u32 v1, v1, s15
	v_add_u32_e32 v4, s15, v4
	v_add_u32_e32 v1, v1, v0
	v_ashrrev_i32_e32 v2, 31, v1
	v_lshlrev_b64 v[1:2], 2, v[1:2]
	v_add_co_u32_e32 v1, vcc, s10, v1
	v_addc_co_u32_e32 v2, vcc, v5, v2, vcc
	global_load_dword v5, v[1:2], off
	s_waitcnt vmcnt(0)
	v_add_u32_e32 v4, v4, v5
	global_store_dword v[1:2], v4, off
.LBB0_11:                               ;   in Loop: Header=BB0_8 Depth=1
	s_mov_b64 s[4:5], 0
.LBB0_12:                               ;   in Loop: Header=BB0_8 Depth=1
	s_andn2_b64 vcc, exec, s[4:5]
	s_cbranch_vccnz .LBB0_19
; %bb.13:                               ;   in Loop: Header=BB0_8 Depth=1
	s_cmp_lg_u32 s16, 1
	s_cbranch_scc1 .LBB0_19
; %bb.14:                               ;   in Loop: Header=BB0_8 Depth=1
	ds_read_b32 v4, v3 offset:4
	s_and_b64 vcc, exec, s[2:3]
	s_mov_b64 s[4:5], -1
                                        ; implicit-def: $vgpr5
	s_waitcnt lgkmcnt(0)
	v_subrev_u32_e32 v1, s13, v4
	v_mul_lo_u32 v1, v1, s15
	v_add_u32_e32 v1, v1, v0
	v_ashrrev_i32_e32 v2, 31, v1
	v_lshlrev_b64 v[1:2], 2, v[1:2]
	s_cbranch_vccnz .LBB0_16
; %bb.15:                               ;   in Loop: Header=BB0_8 Depth=1
	v_mov_b32_e32 v6, s11
	v_add_co_u32_e32 v5, vcc, s10, v1
	v_addc_co_u32_e32 v6, vcc, v6, v2, vcc
	global_load_dword v5, v[5:6], off
	s_mov_b64 s[4:5], 0
.LBB0_16:                               ;   in Loop: Header=BB0_8 Depth=1
	s_andn2_b64 vcc, exec, s[4:5]
	s_cbranch_vccnz .LBB0_18
; %bb.17:                               ;   in Loop: Header=BB0_8 Depth=1
	s_waitcnt vmcnt(0)
	v_mov_b32_e32 v5, s11
	v_add_co_u32_e32 v6, vcc, s10, v1
	v_addc_co_u32_e32 v7, vcc, v5, v2, vcc
	global_load_dword v5, v[6:7], off
	s_waitcnt vmcnt(0)
	v_add_u32_e32 v5, s12, v5
	global_store_dword v[6:7], v5, off
.LBB0_18:                               ;   in Loop: Header=BB0_8 Depth=1
	v_mov_b32_e32 v6, s11
	v_add_co_u32_e32 v1, vcc, s10, v1
	v_addc_co_u32_e32 v2, vcc, v6, v2, vcc
	s_waitcnt vmcnt(0)
	v_add_u32_e32 v4, v5, v4
	global_store_dword v[1:2], v4, off
.LBB0_19:                               ;   in Loop: Header=BB0_8 Depth=1
	s_waitcnt vmcnt(0)
	s_barrier
	s_and_saveexec_b64 s[4:5], s[0:1]
	s_cbranch_execz .LBB0_7
; %bb.20:                               ;   in Loop: Header=BB0_8 Depth=1
	s_mov_b64 s[18:19], exec
	v_mbcnt_lo_u32_b32 v1, s18, 0
	v_mbcnt_hi_u32_b32 v1, s19, v1
	v_cmp_eq_u32_e32 vcc, 0, v1
                                        ; implicit-def: $vgpr2
	s_and_saveexec_b64 s[16:17], vcc
	s_cbranch_execz .LBB0_6
; %bb.21:                               ;   in Loop: Header=BB0_8 Depth=1
	s_bcnt1_i32_b64 s18, s[18:19]
	v_mov_b32_e32 v2, s18
	global_atomic_add v2, v3, v2, s[6:7] glc
	s_branch .LBB0_6
.LBB0_22:
	s_endpgm
	.section	.rodata,"a",@progbits
	.p2align	6, 0x0
	.amdhsa_kernel _Z13TaskQueue_gpuPK6task_tPiS2_iii
		.amdhsa_group_segment_fixed_size 0
		.amdhsa_private_segment_fixed_size 0
		.amdhsa_kernarg_size 296
		.amdhsa_user_sgpr_count 6
		.amdhsa_user_sgpr_private_segment_buffer 1
		.amdhsa_user_sgpr_dispatch_ptr 0
		.amdhsa_user_sgpr_queue_ptr 0
		.amdhsa_user_sgpr_kernarg_segment_ptr 1
		.amdhsa_user_sgpr_dispatch_id 0
		.amdhsa_user_sgpr_flat_scratch_init 0
		.amdhsa_user_sgpr_private_segment_size 0
		.amdhsa_uses_dynamic_stack 0
		.amdhsa_system_sgpr_private_segment_wavefront_offset 0
		.amdhsa_system_sgpr_workgroup_id_x 1
		.amdhsa_system_sgpr_workgroup_id_y 0
		.amdhsa_system_sgpr_workgroup_id_z 0
		.amdhsa_system_sgpr_workgroup_info 0
		.amdhsa_system_vgpr_workitem_id 0
		.amdhsa_next_free_vgpr 8
		.amdhsa_next_free_sgpr 20
		.amdhsa_reserve_vcc 1
		.amdhsa_reserve_flat_scratch 0
		.amdhsa_float_round_mode_32 0
		.amdhsa_float_round_mode_16_64 0
		.amdhsa_float_denorm_mode_32 3
		.amdhsa_float_denorm_mode_16_64 3
		.amdhsa_dx10_clamp 1
		.amdhsa_ieee_mode 1
		.amdhsa_fp16_overflow 0
		.amdhsa_exception_fp_ieee_invalid_op 0
		.amdhsa_exception_fp_denorm_src 0
		.amdhsa_exception_fp_ieee_div_zero 0
		.amdhsa_exception_fp_ieee_overflow 0
		.amdhsa_exception_fp_ieee_underflow 0
		.amdhsa_exception_fp_ieee_inexact 0
		.amdhsa_exception_int_div_zero 0
	.end_amdhsa_kernel
	.text
.Lfunc_end0:
	.size	_Z13TaskQueue_gpuPK6task_tPiS2_iii, .Lfunc_end0-_Z13TaskQueue_gpuPK6task_tPiS2_iii
                                        ; -- End function
	.set _Z13TaskQueue_gpuPK6task_tPiS2_iii.num_vgpr, 8
	.set _Z13TaskQueue_gpuPK6task_tPiS2_iii.num_agpr, 0
	.set _Z13TaskQueue_gpuPK6task_tPiS2_iii.numbered_sgpr, 20
	.set _Z13TaskQueue_gpuPK6task_tPiS2_iii.num_named_barrier, 0
	.set _Z13TaskQueue_gpuPK6task_tPiS2_iii.private_seg_size, 0
	.set _Z13TaskQueue_gpuPK6task_tPiS2_iii.uses_vcc, 1
	.set _Z13TaskQueue_gpuPK6task_tPiS2_iii.uses_flat_scratch, 0
	.set _Z13TaskQueue_gpuPK6task_tPiS2_iii.has_dyn_sized_stack, 0
	.set _Z13TaskQueue_gpuPK6task_tPiS2_iii.has_recursion, 0
	.set _Z13TaskQueue_gpuPK6task_tPiS2_iii.has_indirect_call, 0
	.section	.AMDGPU.csdata,"",@progbits
; Kernel info:
; codeLenInByte = 716
; TotalNumSgprs: 24
; NumVgprs: 8
; ScratchSize: 0
; MemoryBound: 0
; FloatMode: 240
; IeeeMode: 1
; LDSByteSize: 0 bytes/workgroup (compile time only)
; SGPRBlocks: 2
; VGPRBlocks: 1
; NumSGPRsForWavesPerEU: 24
; NumVGPRsForWavesPerEU: 8
; Occupancy: 10
; WaveLimiterHint : 0
; COMPUTE_PGM_RSRC2:SCRATCH_EN: 0
; COMPUTE_PGM_RSRC2:USER_SGPR: 6
; COMPUTE_PGM_RSRC2:TRAP_HANDLER: 0
; COMPUTE_PGM_RSRC2:TGID_X_EN: 1
; COMPUTE_PGM_RSRC2:TGID_Y_EN: 0
; COMPUTE_PGM_RSRC2:TGID_Z_EN: 0
; COMPUTE_PGM_RSRC2:TIDIG_COMP_CNT: 0
	.section	.AMDGPU.gpr_maximums,"",@progbits
	.set amdgpu.max_num_vgpr, 0
	.set amdgpu.max_num_agpr, 0
	.set amdgpu.max_num_sgpr, 0
	.section	.AMDGPU.csdata,"",@progbits
	.type	__hip_cuid_2226f04101fd98b5,@object ; @__hip_cuid_2226f04101fd98b5
	.section	.bss,"aw",@nobits
	.globl	__hip_cuid_2226f04101fd98b5
__hip_cuid_2226f04101fd98b5:
	.byte	0                               ; 0x0
	.size	__hip_cuid_2226f04101fd98b5, 1

	.ident	"AMD clang version 22.0.0git (https://github.com/RadeonOpenCompute/llvm-project roc-7.2.4 26084 f58b06dce1f9c15707c5f808fd002e18c2accf7e)"
	.section	".note.GNU-stack","",@progbits
	.addrsig
	.addrsig_sym __hip_cuid_2226f04101fd98b5
	.amdgpu_metadata
---
amdhsa.kernels:
  - .args:
      - .actual_access:  read_only
        .address_space:  global
        .offset:         0
        .size:           8
        .value_kind:     global_buffer
      - .address_space:  global
        .offset:         8
        .size:           8
        .value_kind:     global_buffer
      - .address_space:  global
        .offset:         16
        .size:           8
        .value_kind:     global_buffer
      - .offset:         24
        .size:           4
        .value_kind:     by_value
      - .offset:         28
        .size:           4
        .value_kind:     by_value
      - .offset:         32
        .size:           4
        .value_kind:     by_value
      - .offset:         40
        .size:           4
        .value_kind:     hidden_block_count_x
      - .offset:         44
        .size:           4
        .value_kind:     hidden_block_count_y
      - .offset:         48
        .size:           4
        .value_kind:     hidden_block_count_z
      - .offset:         52
        .size:           2
        .value_kind:     hidden_group_size_x
      - .offset:         54
        .size:           2
        .value_kind:     hidden_group_size_y
      - .offset:         56
        .size:           2
        .value_kind:     hidden_group_size_z
      - .offset:         58
        .size:           2
        .value_kind:     hidden_remainder_x
      - .offset:         60
        .size:           2
        .value_kind:     hidden_remainder_y
      - .offset:         62
        .size:           2
        .value_kind:     hidden_remainder_z
      - .offset:         80
        .size:           8
        .value_kind:     hidden_global_offset_x
      - .offset:         88
        .size:           8
        .value_kind:     hidden_global_offset_y
      - .offset:         96
        .size:           8
        .value_kind:     hidden_global_offset_z
      - .offset:         104
        .size:           2
        .value_kind:     hidden_grid_dims
      - .offset:         160
        .size:           4
        .value_kind:     hidden_dynamic_lds_size
    .group_segment_fixed_size: 0
    .kernarg_segment_align: 8
    .kernarg_segment_size: 296
    .language:       OpenCL C
    .language_version:
      - 2
      - 0
    .max_flat_workgroup_size: 1024
    .name:           _Z13TaskQueue_gpuPK6task_tPiS2_iii
    .private_segment_fixed_size: 0
    .sgpr_count:     24
    .sgpr_spill_count: 0
    .symbol:         _Z13TaskQueue_gpuPK6task_tPiS2_iii.kd
    .uniform_work_group_size: 1
    .uses_dynamic_stack: false
    .vgpr_count:     8
    .vgpr_spill_count: 0
    .wavefront_size: 64
amdhsa.target:   amdgcn-amd-amdhsa--gfx906
amdhsa.version:
  - 1
  - 2
...

	.end_amdgpu_metadata
